;; amdgpu-corpus repo=ROCm/rocFFT kind=compiled arch=gfx1201 opt=O3
	.text
	.amdgcn_target "amdgcn-amd-amdhsa--gfx1201"
	.amdhsa_code_object_version 6
	.protected	fft_rtc_fwd_len121_factors_11_11_wgs_121_tpt_11_dp_op_CI_CI_sbrc_z_xy_aligned ; -- Begin function fft_rtc_fwd_len121_factors_11_11_wgs_121_tpt_11_dp_op_CI_CI_sbrc_z_xy_aligned
	.globl	fft_rtc_fwd_len121_factors_11_11_wgs_121_tpt_11_dp_op_CI_CI_sbrc_z_xy_aligned
	.p2align	8
	.type	fft_rtc_fwd_len121_factors_11_11_wgs_121_tpt_11_dp_op_CI_CI_sbrc_z_xy_aligned,@function
fft_rtc_fwd_len121_factors_11_11_wgs_121_tpt_11_dp_op_CI_CI_sbrc_z_xy_aligned: ; @fft_rtc_fwd_len121_factors_11_11_wgs_121_tpt_11_dp_op_CI_CI_sbrc_z_xy_aligned
; %bb.0:
	s_load_b256 s[4:11], s[0:1], 0x0
	v_mul_u32_u24_e32 v1, 0x21e, v0
	s_mov_b32 s34, 0xf8bb580b
	s_mov_b32 s36, 0x8eee2c13
	;; [unrolled: 1-line block ×4, first 2 shown]
	v_lshrrev_b32_e32 v44, 16, v1
	s_mov_b32 s26, 0x43842ef
	s_mov_b32 s27, 0xbfefac9e
	;; [unrolled: 1-line block ×4, first 2 shown]
	v_mul_lo_u16 v5, 0x79, v44
	s_mov_b32 s30, 0xfd768dbf
	s_mov_b32 s31, 0xbfd207e7
	;; [unrolled: 1-line block ×4, first 2 shown]
	v_sub_nc_u16 v9, v0, v5
	s_mov_b32 s41, 0x3fe14ced
	s_mov_b32 s44, s30
	;; [unrolled: 1-line block ×3, first 2 shown]
	s_wait_kmcnt 0x0
	s_load_b128 s[16:19], s[8:9], 0x8
	s_load_b128 s[12:15], s[10:11], 0x0
	v_and_b32_e32 v50, 0xffff, v9
	s_mov_b32 s40, s34
	s_mov_b32 s22, 0x7f775887
	;; [unrolled: 1-line block ×7, first 2 shown]
	s_load_b64 s[20:21], s[0:1], 0x20
	s_wait_kmcnt 0x0
	s_add_co_i32 s2, s16, -1
	v_mul_lo_u32 v48, s14, v44
	s_mul_hi_u32 s2, s2, 0xba2e8ba3
	v_mov_b32_e32 v49, 0
	s_lshr_b32 s3, s2, 3
	v_mad_co_u64_u32 v[11:12], null, s12, v50, 0
	s_add_co_i32 s2, s3, 1
	v_mul_u32_u24_e32 v44, 0x790, v44
	s_mul_i32 s8, s2, s18
	s_cvt_f32_u32 s15, s2
	s_cvt_f32_u32 s9, s8
	s_wait_alu 0xfffe
	s_delay_alu instid0(SALU_CYCLE_1) | instskip(NEXT) | instid1(SALU_CYCLE_1)
	v_rcp_iflag_f32_e32 v7, s15
	v_rcp_iflag_f32_e32 v1, s9
	s_sub_co_i32 s15, 0, s8
	s_delay_alu instid0(TRANS32_DEP_2) | instskip(NEXT) | instid1(TRANS32_DEP_1)
	v_readfirstlane_b32 s16, v7
	v_readfirstlane_b32 s9, v1
	v_lshlrev_b64_e32 v[1:2], 4, v[48:49]
	v_add_nc_u32_e32 v48, s14, v48
	s_delay_alu instid0(VALU_DEP_4) | instskip(NEXT) | instid1(VALU_DEP_3)
	s_mul_f32 s16, s16, 0x4f7ffffe
	s_mul_f32 s9, s9, 0x4f7ffffe
	s_delay_alu instid0(VALU_DEP_1) | instskip(SKIP_4) | instid1(SALU_CYCLE_2)
	v_lshlrev_b64_e32 v[3:4], 4, v[48:49]
	v_add_nc_u32_e32 v48, s14, v48
	s_wait_alu 0xfffe
	s_cvt_u32_f32 s9, s9
	s_wait_alu 0xfffe
	s_mul_i32 s15, s15, s9
	v_lshlrev_b64_e32 v[5:6], 4, v[48:49]
	s_wait_alu 0xfffe
	s_mul_hi_u32 s15, s9, s15
	v_add_nc_u32_e32 v48, s14, v48
	s_wait_alu 0xfffe
	s_add_co_i32 s9, s9, s15
	s_load_b32 s15, s[10:11], 0x10
	s_mul_hi_u32 s9, ttmp9, s9
	s_wait_alu 0xfffe
	s_mul_i32 s17, s9, s8
	s_add_co_i32 s18, s9, 1
	s_sub_co_i32 s17, ttmp9, s17
	v_lshlrev_b64_e32 v[7:8], 4, v[48:49]
	s_sub_co_i32 s19, s17, s8
	s_cmp_ge_u32 s17, s8
	v_add_nc_u32_e32 v48, s14, v48
	s_cselect_b32 s9, s18, s9
	s_cselect_b32 s17, s19, s17
	s_wait_alu 0xfffe
	s_add_co_i32 s18, s9, 1
	s_cmp_ge_u32 s17, s8
	s_cvt_u32_f32 s17, s16
	s_cselect_b32 s16, s18, s9
	s_not_b32 s3, s3
	s_mul_i32 s8, s16, s8
	s_mul_i32 s3, s3, s17
	s_wait_alu 0xfffe
	s_sub_co_i32 s8, ttmp9, s8
	s_mul_hi_u32 s3, s17, s3
	v_lshlrev_b64_e32 v[9:10], 4, v[48:49]
	s_add_co_i32 s17, s17, s3
	v_add_nc_u32_e32 v48, s14, v48
	s_wait_alu 0xfffe
	s_mul_hi_u32 s3, s8, s17
	s_mul_hi_u32 s17, ttmp9, s17
	s_mul_i32 s9, s3, s2
	s_mul_i32 s17, s17, s2
	s_wait_alu 0xfffe
	s_sub_co_i32 s8, s8, s9
	s_add_co_i32 s9, s3, 1
	s_wait_alu 0xfffe
	s_sub_co_i32 s18, s8, s2
	s_cmp_ge_u32 s8, s2
	v_lshlrev_b64_e32 v[13:14], 4, v[48:49]
	s_cselect_b32 s3, s9, s3
	s_cselect_b32 s8, s18, s8
	s_add_co_i32 s9, s3, 1
	s_wait_alu 0xfffe
	s_cmp_ge_u32 s8, s2
	v_add_nc_u32_e32 v48, s14, v48
	s_cselect_b32 s33, s9, s3
	s_sub_co_i32 s3, ttmp9, s17
	v_mad_co_u64_u32 v[17:18], null, s13, v50, v[12:13]
	s_sub_co_i32 s8, s3, s2
	s_cmp_ge_u32 s3, s2
	v_lshlrev_b64_e32 v[15:16], 4, v[48:49]
	s_wait_alu 0xfffe
	s_cselect_b32 s3, s8, s3
	v_add_nc_u32_e32 v48, s14, v48
	s_sub_co_i32 s8, s3, s2
	s_cmp_ge_u32 s3, s2
	s_wait_alu 0xfffe
	s_cselect_b32 s12, s8, s3
	s_lshl_b64 s[18:19], s[6:7], 3
	s_mov_b32 s7, 0
	s_add_nc_u64 s[2:3], s[10:11], s[18:19]
	s_wait_alu 0xfffe
	s_mul_i32 s12, s12, 11
	s_load_b64 s[2:3], s[2:3], 0x0
	s_load_b128 s[8:11], s[0:1], 0x58
	v_mov_b32_e32 v12, v17
	s_mov_b32 s17, s7
	s_wait_kmcnt 0x0
	s_mul_i32 s6, s33, s15
	s_mul_i32 s13, s12, s14
	v_lshlrev_b64_e32 v[18:19], 4, v[48:49]
	v_lshlrev_b64_e32 v[11:12], 4, v[11:12]
	s_wait_alu 0xfffe
	s_add_co_i32 s6, s13, s6
	v_add_nc_u32_e32 v48, s14, v48
	s_mov_b32 s13, s7
	s_delay_alu instid0(VALU_DEP_1) | instskip(SKIP_4) | instid1(VALU_DEP_1)
	v_lshlrev_b64_e32 v[20:21], 4, v[48:49]
	v_add_nc_u32_e32 v48, s14, v48
	s_mul_u64 s[0:1], s[2:3], s[16:17]
	s_lshl_b64 s[2:3], s[6:7], 4
	s_lshl_b64 s[0:1], s[0:1], 4
	v_lshlrev_b64_e32 v[22:23], 4, v[48:49]
	s_add_nc_u64 s[0:1], s[8:9], s[0:1]
	v_add_nc_u32_e32 v48, s14, v48
	s_add_nc_u64 s[0:1], s[0:1], s[2:3]
	s_add_nc_u64 s[8:9], s[20:21], s[18:19]
	v_add_co_u32 v17, vcc_lo, s0, v11
	v_add_co_ci_u32_e32 v43, vcc_lo, s1, v12, vcc_lo
	v_lshlrev_b64_e32 v[11:12], 4, v[48:49]
	s_delay_alu instid0(VALU_DEP_3) | instskip(SKIP_1) | instid1(VALU_DEP_3)
	v_add_co_u32 v1, vcc_lo, v17, v1
	s_wait_alu 0xfffd
	v_add_co_ci_u32_e32 v2, vcc_lo, v43, v2, vcc_lo
	v_add_co_u32 v24, vcc_lo, v17, v3
	s_wait_alu 0xfffd
	v_add_co_ci_u32_e32 v25, vcc_lo, v43, v4, vcc_lo
	;; [unrolled: 3-line block ×11, first 2 shown]
	s_clause 0xa
	global_load_b128 v[1:4], v[1:2], off
	global_load_b128 v[5:8], v[24:25], off
	;; [unrolled: 1-line block ×11, first 2 shown]
	v_mul_u32_u24_e32 v41, 0x1746, v0
	s_clause 0x1
	s_load_b128 s[0:3], s[20:21], 0x0
	s_load_b64 s[8:9], s[8:9], 0x0
	s_wait_kmcnt 0x0
	s_load_b32 s3, s[20:21], 0x10
	s_mov_b32 s20, 0x8764f0ba
	v_lshrrev_b32_e32 v51, 16, v41
	s_mov_b32 s14, 0xd9c712b6
	s_mov_b32 s21, 0x3feaeb8c
	;; [unrolled: 1-line block ×4, first 2 shown]
	v_add_nc_u32_e32 v41, s12, v51
	v_mul_lo_u16 v43, v51, 11
	s_mov_b32 s19, 0xbfc2375f
	s_delay_alu instid0(VALU_DEP_2) | instskip(NEXT) | instid1(VALU_DEP_2)
	v_mul_hi_u32 v42, 0xba2e8ba3, v41
	v_sub_nc_u16 v0, v0, v43
	v_lshlrev_b32_e32 v43, 4, v50
	s_delay_alu instid0(VALU_DEP_2) | instskip(NEXT) | instid1(VALU_DEP_2)
	v_and_b32_e32 v52, 0xffff, v0
	v_add3_u32 v0, 0, v44, v43
	v_lshrrev_b32_e32 v42, 3, v42
	s_mul_i32 s2, s33, s2
	s_delay_alu instid0(VALU_DEP_2) | instskip(NEXT) | instid1(VALU_DEP_2)
	v_add_nc_u32_e32 v43, 0x1800, v0
	v_mul_lo_u32 v42, v42, 11
	v_add_nc_u32_e32 v53, 0x2000, v0
	v_add_nc_u32_e32 v54, 0x2800, v0
	;; [unrolled: 1-line block ×6, first 2 shown]
	s_wait_loadcnt 0xa
	ds_store_b128 v0, v[1:4]
	s_wait_loadcnt 0x9
	ds_store_b128 v0, v[5:8] offset:1936
	s_wait_loadcnt 0x8
	ds_store_b128 v0, v[9:12] offset:3872
	;; [unrolled: 2-line block ×3, first 2 shown]
	s_wait_loadcnt 0x6
	ds_store_2addr_b64 v43, v[17:18], v[19:20] offset0:200 offset1:201
	s_wait_loadcnt 0x5
	ds_store_2addr_b64 v53, v[21:22], v[23:24] offset0:186 offset1:187
	;; [unrolled: 2-line block ×7, first 2 shown]
	v_sub_nc_u32_e32 v41, v41, v42
	v_lshlrev_b32_e32 v42, 4, v52
	global_wb scope:SCOPE_SE
	s_wait_dscnt 0x0
	s_wait_kmcnt 0x0
	s_barrier_signal -1
	s_barrier_wait -1
	v_mul_u32_u24_e32 v41, 0x79, v41
	global_inv scope:SCOPE_SE
	v_lshlrev_b32_e32 v41, 4, v41
	s_delay_alu instid0(VALU_DEP_1)
	v_add3_u32 v44, 0, v41, v42
	v_add3_u32 v50, 0, v42, v41
	ds_load_b128 v[4:7], v44
	ds_load_b128 v[16:19], v50 offset:176
	ds_load_b128 v[0:3], v50 offset:1760
	;; [unrolled: 1-line block ×10, first 2 shown]
	global_wb scope:SCOPE_SE
	s_wait_dscnt 0x0
	s_barrier_signal -1
	s_barrier_wait -1
	global_inv scope:SCOPE_SE
	v_add_f64_e32 v[45:46], v[4:5], v[16:17]
	v_add_f64_e32 v[47:48], v[6:7], v[18:19]
	v_add_f64_e64 v[53:54], v[18:19], -v[2:3]
	v_add_f64_e64 v[55:56], v[16:17], -v[0:1]
	;; [unrolled: 1-line block ×4, first 2 shown]
	v_add_f64_e32 v[81:82], v[28:29], v[12:13]
	v_add_f64_e32 v[83:84], v[30:31], v[14:15]
	v_add_f64_e64 v[57:58], v[26:27], -v[10:11]
	v_add_f64_e64 v[59:60], v[24:25], -v[8:9]
	v_add_f64_e32 v[16:17], v[16:17], v[0:1]
	v_add_f64_e32 v[18:19], v[18:19], v[2:3]
	;; [unrolled: 1-line block ×4, first 2 shown]
	v_add_f64_e64 v[77:78], v[34:35], -v[42:43]
	v_add_f64_e64 v[79:80], v[32:33], -v[40:41]
	v_add_f64_e32 v[63:64], v[36:37], v[20:21]
	v_add_f64_e64 v[69:70], v[36:37], -v[20:21]
	v_add_f64_e32 v[65:66], v[38:39], v[22:23]
	;; [unrolled: 2-line block ×3, first 2 shown]
	v_add_f64_e32 v[47:48], v[47:48], v[26:27]
	v_mul_f64_e32 v[85:86], s[34:35], v[53:54]
	v_mul_f64_e32 v[87:88], s[34:35], v[55:56]
	;; [unrolled: 1-line block ×10, first 2 shown]
	v_add_f64_e32 v[24:25], v[24:25], v[8:9]
	v_add_f64_e32 v[26:27], v[26:27], v[10:11]
	v_mul_f64_e32 v[101:102], s[36:37], v[57:58]
	v_mul_f64_e32 v[103:104], s[28:29], v[57:58]
	;; [unrolled: 1-line block ×24, first 2 shown]
	v_add_f64_e32 v[28:29], v[45:46], v[28:29]
	v_add_f64_e32 v[30:31], v[47:48], v[30:31]
	v_mul_f64_e32 v[45:46], s[40:41], v[57:58]
	v_mul_f64_e32 v[47:48], s[36:37], v[59:60]
	s_wait_alu 0xfffe
	v_fma_f64 v[161:162], v[16:17], s[14:15], -v[89:90]
	v_fma_f64 v[163:164], v[18:19], s[14:15], v[91:92]
	v_fma_f64 v[89:90], v[16:17], s[14:15], v[89:90]
	v_fma_f64 v[165:166], v[16:17], s[18:19], -v[93:94]
	v_fma_f64 v[167:168], v[18:19], s[18:19], v[95:96]
	v_fma_f64 v[93:94], v[16:17], s[18:19], v[93:94]
	v_fma_f64 v[169:170], v[16:17], s[22:23], -v[97:98]
	v_fma_f64 v[171:172], v[18:19], s[22:23], v[99:100]
	v_mul_f64_e32 v[59:60], s[40:41], v[59:60]
	v_fma_f64 v[97:98], v[16:17], s[22:23], v[97:98]
	v_fma_f64 v[173:174], v[16:17], s[24:25], -v[53:54]
	v_fma_f64 v[175:176], v[18:19], s[24:25], v[55:56]
	v_fma_f64 v[91:92], v[18:19], s[14:15], -v[91:92]
	v_fma_f64 v[95:96], v[18:19], s[18:19], -v[95:96]
	;; [unrolled: 1-line block ×3, first 2 shown]
	v_mul_f64_e32 v[57:58], s[26:27], v[61:62]
	v_mul_f64_e32 v[61:62], s[28:29], v[61:62]
	v_fma_f64 v[177:178], v[24:25], s[24:25], -v[105:106]
	v_fma_f64 v[105:106], v[24:25], s[24:25], v[105:106]
	v_fma_f64 v[179:180], v[24:25], s[18:19], -v[107:108]
	v_fma_f64 v[107:108], v[24:25], s[18:19], v[107:108]
	v_fma_f64 v[183:184], v[26:27], s[22:23], v[109:110]
	;; [unrolled: 1-line block ×3, first 2 shown]
	v_fma_f64 v[109:110], v[26:27], s[22:23], -v[109:110]
	v_fma_f64 v[111:112], v[26:27], s[24:25], -v[111:112]
	;; [unrolled: 1-line block ×3, first 2 shown]
	v_fma_f64 v[115:116], v[81:82], s[24:25], v[115:116]
	v_fma_f64 v[189:190], v[81:82], s[14:15], -v[117:118]
	v_fma_f64 v[117:118], v[81:82], s[14:15], v[117:118]
	v_fma_f64 v[191:192], v[81:82], s[20:21], -v[119:120]
	v_fma_f64 v[119:120], v[81:82], s[20:21], v[119:120]
	v_mul_f64_e32 v[79:80], s[38:39], v[79:80]
	v_mul_f64_e32 v[147:148], s[40:41], v[71:72]
	;; [unrolled: 1-line block ×3, first 2 shown]
	v_add_f64_e32 v[28:29], v[28:29], v[32:33]
	v_add_f64_e32 v[30:31], v[30:31], v[34:35]
	v_fma_f64 v[32:33], v[16:17], s[20:21], -v[85:86]
	v_fma_f64 v[34:35], v[18:19], s[20:21], v[87:88]
	v_fma_f64 v[85:86], v[16:17], s[20:21], v[85:86]
	v_fma_f64 v[87:88], v[18:19], s[20:21], -v[87:88]
	v_fma_f64 v[16:17], v[16:17], s[24:25], v[53:54]
	v_fma_f64 v[18:19], v[18:19], s[24:25], -v[55:56]
	;; [unrolled: 2-line block ×3, first 2 shown]
	v_fma_f64 v[101:102], v[24:25], s[22:23], -v[103:104]
	v_fma_f64 v[103:104], v[24:25], s[22:23], v[103:104]
	v_fma_f64 v[181:182], v[24:25], s[20:21], -v[45:46]
	v_fma_f64 v[24:25], v[24:25], s[20:21], v[45:46]
	v_fma_f64 v[45:46], v[26:27], s[14:15], -v[47:48]
	v_add_f64_e32 v[161:162], v[4:5], v[161:162]
	v_add_f64_e32 v[163:164], v[6:7], v[163:164]
	v_add_f64_e32 v[89:90], v[4:5], v[89:90]
	v_add_f64_e32 v[165:166], v[4:5], v[165:166]
	v_add_f64_e32 v[167:168], v[6:7], v[167:168]
	v_add_f64_e32 v[93:94], v[4:5], v[93:94]
	v_add_f64_e32 v[169:170], v[4:5], v[169:170]
	v_add_f64_e32 v[171:172], v[6:7], v[171:172]
	v_add_f64_e32 v[97:98], v[4:5], v[97:98]
	v_add_f64_e32 v[173:174], v[4:5], v[173:174]
	v_add_f64_e32 v[175:176], v[6:7], v[175:176]
	v_fma_f64 v[47:48], v[26:27], s[14:15], v[47:48]
	v_add_f64_e32 v[95:96], v[6:7], v[95:96]
	v_add_f64_e32 v[91:92], v[6:7], v[91:92]
	v_fma_f64 v[193:194], v[81:82], s[22:23], -v[61:62]
	v_fma_f64 v[61:62], v[81:82], s[22:23], v[61:62]
	v_fma_f64 v[195:196], v[73:74], s[18:19], -v[131:132]
	v_fma_f64 v[131:132], v[73:74], s[18:19], v[131:132]
	;; [unrolled: 2-line block ×4, first 2 shown]
	v_mul_f64_e32 v[149:150], s[28:29], v[71:72]
	v_add_f64_e32 v[28:29], v[28:29], v[36:37]
	v_add_f64_e32 v[30:31], v[30:31], v[38:39]
	;; [unrolled: 1-line block ×3, first 2 shown]
	v_fma_f64 v[36:37], v[26:27], s[18:19], v[113:114]
	v_add_f64_e32 v[85:86], v[4:5], v[85:86]
	v_add_f64_e32 v[87:88], v[6:7], v[87:88]
	v_fma_f64 v[38:39], v[26:27], s[18:19], -v[113:114]
	v_fma_f64 v[113:114], v[26:27], s[20:21], v[59:60]
	v_fma_f64 v[26:27], v[26:27], s[20:21], -v[59:60]
	v_add_f64_e32 v[4:5], v[4:5], v[16:17]
	v_add_f64_e32 v[16:17], v[6:7], v[18:19]
	;; [unrolled: 1-line block ×4, first 2 shown]
	v_fma_f64 v[59:60], v[81:82], s[18:19], v[57:58]
	v_fma_f64 v[57:58], v[81:82], s[18:19], -v[57:58]
	v_fma_f64 v[81:82], v[83:84], s[18:19], -v[121:122]
	v_fma_f64 v[34:35], v[83:84], s[14:15], v[125:126]
	v_fma_f64 v[99:100], v[83:84], s[14:15], -v[125:126]
	v_fma_f64 v[125:126], v[83:84], s[20:21], -v[127:128]
	v_fma_f64 v[121:122], v[83:84], s[18:19], v[121:122]
	v_add_f64_e32 v[93:94], v[105:106], v[93:94]
	v_mul_f64_e32 v[153:154], s[28:29], v[69:70]
	v_mul_f64_e32 v[145:146], s[30:31], v[71:72]
	v_add_f64_e32 v[97:98], v[107:108], v[97:98]
	v_add_f64_e32 v[105:106], v[181:182], v[173:174]
	v_mul_f64_e32 v[151:152], s[38:39], v[71:72]
	v_mul_f64_e32 v[71:72], s[26:27], v[71:72]
	;; [unrolled: 1-line block ×5, first 2 shown]
	v_add_f64_e32 v[20:21], v[28:29], v[20:21]
	v_add_f64_e32 v[22:23], v[30:31], v[22:23]
	v_fma_f64 v[28:29], v[83:84], s[24:25], v[123:124]
	v_add_f64_e32 v[32:33], v[55:56], v[32:33]
	v_add_f64_e32 v[53:54], v[53:54], v[85:86]
	;; [unrolled: 1-line block ×8, first 2 shown]
	v_fma_f64 v[30:31], v[83:84], s[24:25], -v[123:124]
	v_fma_f64 v[123:124], v[83:84], s[20:21], v[127:128]
	v_add_f64_e32 v[103:104], v[179:180], v[169:170]
	v_add_f64_e32 v[36:37], v[36:37], v[171:172]
	v_fma_f64 v[127:128], v[83:84], s[22:23], v[67:68]
	v_add_f64_e32 v[107:108], v[113:114], v[175:176]
	v_fma_f64 v[67:68], v[83:84], s[22:23], -v[67:68]
	v_add_f64_e32 v[4:5], v[24:25], v[4:5]
	v_add_f64_e32 v[16:17], v[26:27], v[16:17]
	;; [unrolled: 1-line block ×6, first 2 shown]
	v_fma_f64 v[83:84], v[73:74], s[22:23], v[129:130]
	v_fma_f64 v[129:130], v[73:74], s[22:23], -v[129:130]
	v_fma_f64 v[38:39], v[73:74], s[14:15], -v[77:78]
	v_fma_f64 v[91:92], v[75:76], s[20:21], v[141:142]
	v_fma_f64 v[109:110], v[75:76], s[24:25], v[143:144]
	;; [unrolled: 1-line block ×4, first 2 shown]
	v_fma_f64 v[95:96], v[75:76], s[20:21], -v[141:142]
	v_fma_f64 v[111:112], v[75:76], s[24:25], -v[143:144]
	v_fma_f64 v[141:142], v[63:64], s[20:21], v[147:148]
	v_add_f64_e32 v[20:21], v[20:21], v[40:41]
	v_add_f64_e32 v[22:23], v[22:23], v[42:43]
	v_fma_f64 v[40:41], v[73:74], s[14:15], v[77:78]
	v_fma_f64 v[42:43], v[75:76], s[22:23], -v[137:138]
	v_fma_f64 v[73:74], v[75:76], s[18:19], v[139:140]
	v_add_f64_e32 v[45:46], v[81:82], v[45:46]
	v_add_f64_e32 v[55:56], v[187:188], v[55:56]
	;; [unrolled: 1-line block ×13, first 2 shown]
	v_fma_f64 v[77:78], v[75:76], s[18:19], -v[139:140]
	v_fma_f64 v[75:76], v[75:76], s[14:15], -v[79:80]
	v_add_f64_e32 v[4:5], v[61:62], v[4:5]
	v_add_f64_e32 v[16:17], v[67:68], v[16:17]
	v_add_f64_e32 v[87:88], v[119:120], v[97:98]
	v_add_f64_e32 v[18:19], v[125:126], v[18:19]
	v_add_f64_e32 v[24:25], v[99:100], v[24:25]
	v_add_f64_e32 v[26:27], v[30:31], v[26:27]
	v_add_f64_e32 v[6:7], v[121:122], v[6:7]
	v_fma_f64 v[139:140], v[63:64], s[20:21], -v[147:148]
	v_fma_f64 v[107:108], v[65:66], s[20:21], v[159:160]
	v_fma_f64 v[79:80], v[63:64], s[24:25], v[145:146]
	v_fma_f64 v[137:138], v[63:64], s[24:25], -v[145:146]
	v_fma_f64 v[30:31], v[63:64], s[22:23], v[149:150]
	v_fma_f64 v[61:62], v[63:64], s[14:15], -v[151:152]
	;; [unrolled: 2-line block ×4, first 2 shown]
	v_fma_f64 v[103:104], v[65:66], s[18:19], v[157:158]
	v_add_f64_e32 v[12:13], v[20:21], v[12:13]
	v_add_f64_e32 v[14:15], v[22:23], v[14:15]
	v_fma_f64 v[20:21], v[63:64], s[22:23], -v[149:150]
	v_fma_f64 v[22:23], v[65:66], s[22:23], v[153:154]
	v_fma_f64 v[63:64], v[63:64], s[18:19], v[71:72]
	v_add_f64_e32 v[42:43], v[42:43], v[45:46]
	v_add_f64_e32 v[45:46], v[195:196], v[55:56]
	;; [unrolled: 1-line block ×3, first 2 shown]
	v_fma_f64 v[71:72], v[65:66], s[22:23], -v[153:154]
	v_fma_f64 v[105:106], v[65:66], s[18:19], -v[157:158]
	v_add_f64_e32 v[55:56], v[131:132], v[57:58]
	v_add_f64_e32 v[57:58], v[197:198], v[59:60]
	;; [unrolled: 1-line block ×3, first 2 shown]
	v_fma_f64 v[115:116], v[65:66], s[20:21], -v[159:160]
	v_fma_f64 v[117:118], v[65:66], s[24:25], -v[69:70]
	v_fma_f64 v[65:66], v[65:66], s[24:25], v[69:70]
	v_add_f64_e32 v[59:60], v[133:134], v[81:82]
	v_add_f64_e32 v[69:70], v[199:200], v[85:86]
	;; [unrolled: 1-line block ×18, first 2 shown]
	v_mul_u32_u24_e32 v45, 10, v52
	v_mad_u32_u24 v46, 0xa0, v52, v50
	v_add_f64_e32 v[16:17], v[141:142], v[55:56]
	v_add_f64_e32 v[20:21], v[20:21], v[57:58]
	;; [unrolled: 1-line block ×3, first 2 shown]
	v_lshlrev_b32_e32 v45, 4, v45
	v_add_f64_e32 v[6:7], v[117:118], v[42:43]
	v_add_f64_e32 v[24:25], v[30:31], v[59:60]
	;; [unrolled: 1-line block ×15, first 2 shown]
	v_mul_lo_u32 v48, s3, v51
	v_add_f64_e32 v[0:1], v[85:86], v[0:1]
	v_add_f64_e32 v[2:3], v[87:88], v[2:3]
	ds_store_b128 v46, v[12:15] offset:32
	ds_store_b128 v46, v[20:23] offset:48
	;; [unrolled: 1-line block ×10, first 2 shown]
	ds_store_b128 v46, v[0:3]
	global_wb scope:SCOPE_SE
	s_wait_dscnt 0x0
	s_barrier_signal -1
	s_barrier_wait -1
	global_inv scope:SCOPE_SE
	s_clause 0x9
	global_load_b128 v[32:35], v45, s[4:5]
	global_load_b128 v[36:39], v45, s[4:5] offset:144
	global_load_b128 v[24:27], v45, s[4:5] offset:16
	global_load_b128 v[28:31], v45, s[4:5] offset:128
	global_load_b128 v[12:15], v45, s[4:5] offset:32
	global_load_b128 v[16:19], v45, s[4:5] offset:112
	global_load_b128 v[4:7], v45, s[4:5] offset:48
	global_load_b128 v[20:23], v45, s[4:5] offset:96
	global_load_b128 v[8:11], v45, s[4:5] offset:64
	global_load_b128 v[0:3], v45, s[4:5] offset:80
	ds_load_b128 v[40:43], v50 offset:176
	ds_load_b128 v[44:47], v44
	ds_load_b128 v[53:56], v50 offset:1760
	ds_load_b128 v[57:60], v50 offset:352
	;; [unrolled: 1-line block ×9, first 2 shown]
	s_mul_i32 s4, s3, 11
	s_mov_b32 s3, s7
	global_wb scope:SCOPE_SE
	s_wait_loadcnt_dscnt 0x0
	s_wait_alu 0xfffe
	s_lshl_b64 s[2:3], s[2:3], 4
	s_barrier_signal -1
	s_barrier_wait -1
	global_inv scope:SCOPE_SE
	v_mul_f64_e32 v[89:90], v[42:43], v[34:35]
	v_mul_f64_e32 v[34:35], v[40:41], v[34:35]
	;; [unrolled: 1-line block ×15, first 2 shown]
	v_lshlrev_b64_e32 v[26:27], 4, v[48:49]
	v_add_nc_u32_e32 v48, s4, v48
	s_delay_alu instid0(VALU_DEP_1) | instskip(SKIP_1) | instid1(VALU_DEP_1)
	v_lshlrev_b64_e32 v[30:31], 4, v[48:49]
	v_add_nc_u32_e32 v48, s4, v48
	v_lshlrev_b64_e32 v[2:3], 4, v[48:49]
	v_add_nc_u32_e32 v48, s4, v48
	v_fma_f64 v[40:41], v[40:41], v[32:33], -v[89:90]
	v_fma_f64 v[32:33], v[42:43], v[32:33], v[34:35]
	v_mul_f64_e32 v[34:35], v[65:66], v[14:15]
	v_mul_f64_e32 v[42:43], v[69:70], v[18:19]
	v_mul_f64_e32 v[14:15], v[67:68], v[14:15]
	v_mul_f64_e32 v[18:19], v[71:72], v[18:19]
	v_fma_f64 v[10:11], v[53:54], v[36:37], -v[38:39]
	v_fma_f64 v[38:39], v[57:58], v[24:25], -v[93:94]
	v_fma_f64 v[24:25], v[59:60], v[24:25], v[95:96]
	v_mul_f64_e32 v[89:90], v[79:80], v[6:7]
	v_fma_f64 v[6:7], v[55:56], v[36:37], v[91:92]
	v_mad_co_u64_u32 v[36:37], null, s0, v52, 0
	v_fma_f64 v[53:54], v[63:64], v[28:29], v[97:98]
	v_fma_f64 v[28:29], v[61:62], v[28:29], -v[99:100]
	v_lshlrev_b32_e32 v91, 4, v51
	v_lshlrev_b64_e32 v[55:56], 4, v[48:49]
	v_add_nc_u32_e32 v48, s4, v48
	s_delay_alu instid0(VALU_DEP_1)
	v_lshlrev_b64_e32 v[61:62], 4, v[48:49]
	v_add_nc_u32_e32 v48, s4, v48
	v_add_f64_e32 v[57:58], v[44:45], v[40:41]
	v_add_f64_e32 v[59:60], v[46:47], v[32:33]
	v_fma_f64 v[34:35], v[67:68], v[12:13], v[34:35]
	v_fma_f64 v[42:43], v[71:72], v[16:17], v[42:43]
	v_fma_f64 v[12:13], v[65:66], v[12:13], -v[14:15]
	v_fma_f64 v[14:15], v[69:70], v[16:17], -v[18:19]
	v_fma_f64 v[18:19], v[75:76], v[20:21], v[103:104]
	v_mad_co_u64_u32 v[63:64], null, s1, v52, v[37:38]
	v_fma_f64 v[20:21], v[73:74], v[20:21], -v[22:23]
	v_fma_f64 v[64:65], v[87:88], v[0:1], v[109:110]
	v_fma_f64 v[69:70], v[85:86], v[0:1], -v[111:112]
	v_mul_u32_u24_e32 v0, 0x790, v52
	v_add_f64_e64 v[51:52], v[32:33], -v[6:7]
	v_add_f64_e64 v[73:74], v[40:41], -v[10:11]
	v_fma_f64 v[16:17], v[77:78], v[4:5], -v[89:90]
	v_fma_f64 v[4:5], v[79:80], v[4:5], v[101:102]
	v_fma_f64 v[22:23], v[81:82], v[8:9], -v[105:106]
	v_fma_f64 v[8:9], v[83:84], v[8:9], v[107:108]
	v_add3_u32 v0, 0, v0, v91
	v_add_f64_e64 v[77:78], v[24:25], -v[53:54]
	v_add_f64_e64 v[79:80], v[38:39], -v[28:29]
	v_add_f64_e32 v[40:41], v[40:41], v[10:11]
	v_add_f64_e32 v[32:33], v[32:33], v[6:7]
	v_mov_b32_e32 v37, v63
	s_mul_u64 s[0:1], s[0:1], s[12:13]
	v_lshlrev_b64_e32 v[67:68], 4, v[48:49]
	s_wait_alu 0xfffe
	s_lshl_b64 s[0:1], s[0:1], 4
	v_add_nc_u32_e32 v48, s4, v48
	s_wait_alu 0xfffe
	s_add_nc_u64 s[0:1], s[10:11], s[0:1]
	v_lshlrev_b64_e32 v[36:37], 4, v[36:37]
	s_wait_alu 0xfffe
	s_add_nc_u64 s[0:1], s[0:1], s[2:3]
	s_mul_u64 s[2:3], s[8:9], s[16:17]
	v_lshlrev_b64_e32 v[71:72], 4, v[48:49]
	s_wait_alu 0xfffe
	s_lshl_b64 s[2:3], s[2:3], 4
	v_add_nc_u32_e32 v48, s4, v48
	s_wait_alu 0xfffe
	s_add_nc_u64 s[0:1], s[0:1], s[2:3]
	v_add_f64_e32 v[57:58], v[57:58], v[38:39]
	v_add_f64_e32 v[59:60], v[59:60], v[24:25]
	;; [unrolled: 1-line block ×3, first 2 shown]
	v_add_f64_e64 v[83:84], v[34:35], -v[42:43]
	v_add_f64_e32 v[91:92], v[34:35], v[42:43]
	v_add_f64_e64 v[87:88], v[12:13], -v[14:15]
	v_add_f64_e32 v[89:90], v[12:13], v[14:15]
	v_add_f64_e32 v[24:25], v[24:25], v[53:54]
	v_lshlrev_b64_e32 v[75:76], 4, v[48:49]
	v_add_nc_u32_e32 v48, s4, v48
	v_mul_f64_e32 v[109:110], s[34:35], v[51:52]
	v_mul_f64_e32 v[111:112], s[34:35], v[73:74]
	;; [unrolled: 1-line block ×10, first 2 shown]
	v_add_f64_e64 v[93:94], v[4:5], -v[18:19]
	v_add_f64_e32 v[99:100], v[4:5], v[18:19]
	v_add_f64_e32 v[95:96], v[16:17], v[20:21]
	v_add_f64_e64 v[97:98], v[16:17], -v[20:21]
	v_mul_f64_e32 v[125:126], s[36:37], v[77:78]
	v_mul_f64_e32 v[129:130], s[28:29], v[77:78]
	;; [unrolled: 1-line block ×6, first 2 shown]
	v_add_f64_e64 v[101:102], v[8:9], -v[64:65]
	v_add_f64_e32 v[107:108], v[8:9], v[64:65]
	v_add_f64_e32 v[103:104], v[22:23], v[69:70]
	v_add_f64_e64 v[105:106], v[22:23], -v[69:70]
	v_lshlrev_b64_e32 v[81:82], 4, v[48:49]
	v_add_f64_e32 v[12:13], v[57:58], v[12:13]
	v_add_f64_e32 v[34:35], v[59:60], v[34:35]
	v_mul_f64_e32 v[57:58], s[44:45], v[77:78]
	v_mul_f64_e32 v[59:60], s[44:45], v[79:80]
	;; [unrolled: 1-line block ×11, first 2 shown]
	v_fma_f64 v[181:182], v[40:41], s[20:21], -v[109:110]
	v_fma_f64 v[183:184], v[32:33], s[20:21], v[111:112]
	v_fma_f64 v[109:110], v[40:41], s[20:21], v[109:110]
	v_mul_f64_e32 v[149:150], s[38:39], v[87:88]
	v_fma_f64 v[185:186], v[40:41], s[18:19], -v[117:118]
	v_fma_f64 v[187:188], v[32:33], s[18:19], v[119:120]
	v_fma_f64 v[189:190], v[40:41], s[22:23], -v[121:122]
	v_fma_f64 v[191:192], v[32:33], s[22:23], v[123:124]
	;; [unrolled: 2-line block ×3, first 2 shown]
	v_fma_f64 v[117:118], v[40:41], s[18:19], v[117:118]
	v_fma_f64 v[119:120], v[32:33], s[18:19], -v[119:120]
	v_fma_f64 v[121:122], v[40:41], s[22:23], v[121:122]
	v_fma_f64 v[123:124], v[32:33], s[22:23], -v[123:124]
	v_mul_f64_e32 v[151:152], s[34:35], v[87:88]
	v_fma_f64 v[197:198], v[38:39], s[22:23], -v[129:130]
	v_fma_f64 v[199:200], v[24:25], s[22:23], v[131:132]
	v_mul_f64_e32 v[87:88], s[28:29], v[87:88]
	v_fma_f64 v[205:206], v[38:39], s[18:19], -v[133:134]
	v_fma_f64 v[207:208], v[24:25], s[18:19], v[135:136]
	v_fma_f64 v[129:130], v[38:39], s[22:23], v[129:130]
	;; [unrolled: 1-line block ×3, first 2 shown]
	v_mul_f64_e32 v[153:154], s[28:29], v[93:94]
	v_mul_f64_e32 v[155:156], s[42:43], v[93:94]
	;; [unrolled: 1-line block ×3, first 2 shown]
	v_add_f64_e32 v[12:13], v[12:13], v[16:17]
	v_add_f64_e32 v[4:5], v[34:35], v[4:5]
	v_fma_f64 v[16:17], v[32:33], s[20:21], -v[111:112]
	v_fma_f64 v[34:35], v[40:41], s[14:15], -v[113:114]
	v_fma_f64 v[111:112], v[32:33], s[14:15], v[115:116]
	v_fma_f64 v[113:114], v[40:41], s[14:15], v[113:114]
	v_fma_f64 v[115:116], v[32:33], s[14:15], -v[115:116]
	v_fma_f64 v[40:41], v[40:41], s[24:25], v[51:52]
	v_fma_f64 v[32:33], v[32:33], s[24:25], -v[73:74]
	v_fma_f64 v[51:52], v[38:39], s[14:15], -v[125:126]
	v_fma_f64 v[73:74], v[24:25], s[14:15], v[127:128]
	v_fma_f64 v[125:126], v[38:39], s[14:15], v[125:126]
	v_fma_f64 v[201:202], v[38:39], s[24:25], -v[57:58]
	v_add_f64_e32 v[181:182], v[44:45], v[181:182]
	v_fma_f64 v[203:204], v[24:25], s[24:25], v[59:60]
	v_add_f64_e32 v[183:184], v[46:47], v[183:184]
	v_add_f64_e32 v[109:110], v[44:45], v[109:110]
	;; [unrolled: 1-line block ×6, first 2 shown]
	v_fma_f64 v[127:128], v[24:25], s[14:15], -v[127:128]
	v_fma_f64 v[57:58], v[38:39], s[24:25], v[57:58]
	v_fma_f64 v[209:210], v[38:39], s[20:21], -v[77:78]
	v_fma_f64 v[38:39], v[38:39], s[20:21], v[77:78]
	v_fma_f64 v[77:78], v[24:25], s[22:23], -v[131:132]
	v_fma_f64 v[131:132], v[24:25], s[18:19], -v[135:136]
	v_fma_f64 v[135:136], v[24:25], s[20:21], v[79:80]
	v_add_f64_e32 v[193:194], v[44:45], v[193:194]
	v_add_f64_e32 v[195:196], v[46:47], v[195:196]
	;; [unrolled: 1-line block ×5, first 2 shown]
	v_fma_f64 v[59:60], v[24:25], s[24:25], -v[59:60]
	v_add_f64_e32 v[119:120], v[46:47], v[119:120]
	v_mul_f64_e32 v[159:160], s[30:31], v[93:94]
	v_mul_f64_e32 v[93:94], s[38:39], v[93:94]
	;; [unrolled: 1-line block ×3, first 2 shown]
	v_add_f64_e32 v[12:13], v[12:13], v[22:23]
	v_add_f64_e32 v[4:5], v[4:5], v[8:9]
	;; [unrolled: 1-line block ×5, first 2 shown]
	v_fma_f64 v[8:9], v[24:25], s[20:21], -v[79:80]
	v_add_f64_e32 v[113:114], v[44:45], v[113:114]
	v_add_f64_e32 v[40:41], v[44:45], v[40:41]
	v_add_f64_e32 v[32:33], v[46:47], v[32:33]
	v_add_f64_e32 v[115:116], v[46:47], v[115:116]
	v_fma_f64 v[22:23], v[89:90], s[18:19], -v[137:138]
	v_fma_f64 v[79:80], v[89:90], s[24:25], -v[139:140]
	v_fma_f64 v[44:45], v[91:92], s[24:25], v[147:148]
	v_add_f64_e32 v[51:52], v[51:52], v[181:182]
	v_mul_f64_e32 v[165:166], s[34:35], v[97:98]
	v_fma_f64 v[24:25], v[89:90], s[18:19], v[137:138]
	v_fma_f64 v[137:138], v[89:90], s[24:25], v[139:140]
	v_fma_f64 v[139:140], v[89:90], s[14:15], -v[141:142]
	v_fma_f64 v[141:142], v[89:90], s[14:15], v[141:142]
	v_fma_f64 v[211:212], v[89:90], s[20:21], -v[143:144]
	;; [unrolled: 2-line block ×3, first 2 shown]
	v_fma_f64 v[83:84], v[89:90], s[22:23], v[83:84]
	v_fma_f64 v[89:90], v[91:92], s[18:19], v[145:146]
	v_fma_f64 v[46:47], v[91:92], s[24:25], -v[147:148]
	v_fma_f64 v[147:148], v[91:92], s[14:15], v[149:150]
	v_add_f64_e32 v[73:74], v[73:74], v[183:184]
	v_add_f64_e32 v[109:110], v[125:126], v[109:110]
	;; [unrolled: 1-line block ×4, first 2 shown]
	v_mul_f64_e32 v[167:168], s[30:31], v[97:98]
	v_add_f64_e32 v[189:190], v[205:206], v[189:190]
	v_add_f64_e32 v[191:192], v[207:208], v[191:192]
	v_mul_f64_e32 v[161:162], s[28:29], v[97:98]
	v_mul_f64_e32 v[97:98], s[38:39], v[97:98]
	v_fma_f64 v[145:146], v[91:92], s[18:19], -v[145:146]
	v_add_f64_e32 v[193:194], v[209:210], v[193:194]
	v_add_f64_e32 v[135:136], v[135:136], v[195:196]
	;; [unrolled: 1-line block ×4, first 2 shown]
	v_fma_f64 v[65:66], v[91:92], s[20:21], v[151:152]
	v_add_f64_e32 v[34:35], v[197:198], v[34:35]
	v_add_f64_e32 v[111:112], v[199:200], v[111:112]
	v_fma_f64 v[63:64], v[91:92], s[14:15], -v[149:150]
	v_fma_f64 v[149:150], v[91:92], s[22:23], v[87:88]
	v_add_f64_e32 v[16:17], v[127:128], v[16:17]
	v_fma_f64 v[87:88], v[91:92], s[22:23], -v[87:88]
	v_add_f64_e32 v[38:39], v[38:39], v[40:41]
	v_add_f64_e32 v[8:9], v[8:9], v[32:33]
	v_fma_f64 v[69:70], v[91:92], s[20:21], -v[151:152]
	v_add_f64_e32 v[57:58], v[57:58], v[117:118]
	v_add_f64_e32 v[117:118], v[133:134], v[121:122]
	;; [unrolled: 1-line block ×6, first 2 shown]
	v_mul_f64_e32 v[169:170], s[30:31], v[101:102]
	v_mul_f64_e32 v[171:172], s[40:41], v[101:102]
	;; [unrolled: 1-line block ×6, first 2 shown]
	v_fma_f64 v[181:182], v[95:96], s[22:23], -v[153:154]
	v_fma_f64 v[153:154], v[95:96], s[22:23], v[153:154]
	v_fma_f64 v[125:126], v[95:96], s[18:19], -v[155:156]
	v_fma_f64 v[155:156], v[95:96], s[18:19], v[155:156]
	;; [unrolled: 2-line block ×4, first 2 shown]
	v_add_f64_e32 v[22:23], v[22:23], v[51:52]
	v_mul_f64_e32 v[91:92], s[28:29], v[105:106]
	v_fma_f64 v[119:120], v[99:100], s[20:21], v[165:166]
	v_add_f64_e32 v[51:52], v[89:90], v[73:74]
	v_add_f64_e32 v[24:25], v[24:25], v[109:110]
	;; [unrolled: 1-line block ×5, first 2 shown]
	v_fma_f64 v[18:19], v[95:96], s[14:15], -v[93:94]
	v_fma_f64 v[20:21], v[95:96], s[14:15], v[93:94]
	v_fma_f64 v[95:96], v[99:100], s[18:19], v[163:164]
	v_add_f64_e32 v[34:35], v[79:80], v[34:35]
	v_add_f64_e32 v[44:45], v[44:45], v[111:112]
	;; [unrolled: 1-line block ×3, first 2 shown]
	v_mul_f64_e32 v[151:152], s[38:39], v[105:106]
	v_fma_f64 v[123:124], v[99:100], s[24:25], v[167:168]
	v_add_f64_e32 v[89:90], v[211:212], v[189:190]
	v_add_f64_e32 v[65:66], v[65:66], v[191:192]
	v_mul_f64_e32 v[177:178], s[30:31], v[105:106]
	v_mul_f64_e32 v[105:106], s[26:27], v[105:106]
	v_fma_f64 v[77:78], v[99:100], s[22:23], v[161:162]
	v_fma_f64 v[93:94], v[99:100], s[22:23], -v[161:162]
	v_fma_f64 v[131:132], v[99:100], s[14:15], v[97:98]
	v_add_f64_e32 v[16:17], v[145:146], v[16:17]
	v_add_f64_e32 v[109:110], v[213:214], v[193:194]
	;; [unrolled: 1-line block ×3, first 2 shown]
	v_fma_f64 v[97:98], v[99:100], s[14:15], -v[97:98]
	v_add_f64_e32 v[38:39], v[83:84], v[38:39]
	v_add_f64_e32 v[8:9], v[87:88], v[8:9]
	v_fma_f64 v[129:130], v[99:100], s[24:25], -v[167:168]
	v_add_f64_e32 v[117:118], v[143:144], v[117:118]
	v_add_f64_e32 v[32:33], v[69:70], v[32:33]
	;; [unrolled: 3-line block ×4, first 2 shown]
	v_fma_f64 v[99:100], v[103:104], s[24:25], -v[169:170]
	v_fma_f64 v[133:134], v[103:104], s[24:25], v[169:170]
	v_fma_f64 v[161:162], v[103:104], s[20:21], -v[171:172]
	v_fma_f64 v[163:164], v[103:104], s[20:21], v[171:172]
	v_fma_f64 v[59:60], v[103:104], s[22:23], v[173:174]
	v_fma_f64 v[63:64], v[103:104], s[14:15], -v[175:176]
	v_add_f64_e32 v[12:13], v[12:13], v[14:15]
	v_add_f64_e32 v[4:5], v[4:5], v[42:43]
	v_fma_f64 v[42:43], v[103:104], s[22:23], -v[173:174]
	v_fma_f64 v[69:70], v[103:104], s[14:15], v[175:176]
	v_fma_f64 v[83:84], v[103:104], s[18:19], -v[101:102]
	v_fma_f64 v[87:88], v[103:104], s[18:19], v[101:102]
	v_fma_f64 v[103:104], v[107:108], s[20:21], v[179:180]
	v_add_f64_e32 v[22:23], v[181:182], v[22:23]
	v_add_f64_e32 v[34:35], v[125:126], v[34:35]
	;; [unrolled: 1-line block ×3, first 2 shown]
	v_fma_f64 v[137:138], v[107:108], s[22:23], v[91:92]
	v_add_f64_e32 v[24:25], v[153:154], v[24:25]
	v_add_f64_e32 v[73:74], v[127:128], v[73:74]
	;; [unrolled: 1-line block ×3, first 2 shown]
	v_fma_f64 v[139:140], v[107:108], s[14:15], v[151:152]
	v_add_f64_e32 v[89:90], v[183:184], v[89:90]
	v_add_f64_e32 v[65:66], v[123:124], v[65:66]
	v_fma_f64 v[143:144], v[107:108], s[18:19], v[105:106]
	v_add_f64_e32 v[51:52], v[77:78], v[51:52]
	v_add_f64_e32 v[77:78], v[93:94], v[16:17]
	;; [unrolled: 1-line block ×4, first 2 shown]
	v_fma_f64 v[14:15], v[107:108], s[24:25], v[177:178]
	v_fma_f64 v[105:106], v[107:108], s[18:19], -v[105:106]
	v_add_f64_e32 v[38:39], v[20:21], v[38:39]
	v_add_f64_e32 v[8:9], v[97:98], v[8:9]
	v_fma_f64 v[141:142], v[107:108], s[14:15], -v[151:152]
	v_add_f64_e32 v[109:110], v[159:160], v[117:118]
	v_add_f64_e32 v[97:98], v[129:130], v[32:33]
	;; [unrolled: 3-line block ×3, first 2 shown]
	v_fma_f64 v[101:102], v[107:108], s[24:25], -v[177:178]
	v_fma_f64 v[135:136], v[107:108], s[20:21], -v[179:180]
	v_add_f64_e32 v[107:108], v[155:156], v[113:114]
	v_add_f64_e32 v[113:114], v[115:116], v[46:47]
	s_wait_alu 0xfffe
	v_add_co_u32 v123, vcc_lo, s0, v36
	v_add_f64_e32 v[115:116], v[12:13], v[28:29]
	v_add_f64_e32 v[117:118], v[4:5], v[53:54]
	s_wait_alu 0xfffd
	v_add_co_ci_u32_e32 v124, vcc_lo, s1, v37, vcc_lo
	v_add_co_u32 v119, vcc_lo, v123, v26
	v_add_nc_u32_e32 v48, s4, v48
	s_wait_alu 0xfffd
	s_delay_alu instid0(VALU_DEP_3)
	v_add_co_ci_u32_e32 v120, vcc_lo, v124, v27, vcc_lo
	v_add_co_u32 v121, vcc_lo, v123, v30
	v_add_f64_e32 v[12:13], v[99:100], v[22:23]
	v_add_f64_e32 v[20:21], v[161:162], v[34:35]
	v_add_f64_e32 v[22:23], v[103:104], v[44:45]
	v_add_f64_e32 v[16:17], v[133:134], v[24:25]
	v_add_f64_e32 v[24:25], v[42:43], v[73:74]
	v_add_f64_e32 v[26:27], v[137:138], v[79:80]
	s_wait_alu 0xfffd
	v_add_co_ci_u32_e32 v122, vcc_lo, v124, v31, vcc_lo
	v_add_f64_e32 v[28:29], v[63:64], v[89:90]
	v_add_f64_e32 v[30:31], v[139:140], v[65:66]
	v_add_f64_e32 v[32:33], v[83:84], v[93:94]
	v_add_f64_e32 v[34:35], v[143:144], v[95:96]
	v_add_f64_e32 v[14:15], v[14:15], v[51:52]
	v_add_f64_e32 v[51:52], v[87:88], v[38:39]
	v_add_f64_e32 v[53:54], v[105:106], v[8:9]
	v_lshlrev_b64_e32 v[85:86], 4, v[48:49]
	v_add_f64_e32 v[44:45], v[69:70], v[109:110]
	v_add_f64_e32 v[46:47], v[141:142], v[97:98]
	v_add_nc_u32_e32 v48, s4, v48
	v_add_f64_e32 v[40:41], v[59:60], v[57:58]
	v_add_f64_e32 v[42:43], v[91:92], v[111:112]
	;; [unrolled: 1-line block ×3, first 2 shown]
	v_add_co_u32 v57, vcc_lo, v123, v2
	v_add_f64_e32 v[36:37], v[163:164], v[107:108]
	v_add_f64_e32 v[38:39], v[135:136], v[113:114]
	s_wait_alu 0xfffd
	v_add_co_ci_u32_e32 v58, vcc_lo, v124, v3, vcc_lo
	v_add_f64_e32 v[4:5], v[115:116], v[10:11]
	v_add_f64_e32 v[6:7], v[117:118], v[6:7]
	v_add_co_u32 v55, vcc_lo, v123, v55
	s_wait_alu 0xfffd
	v_add_co_ci_u32_e32 v56, vcc_lo, v124, v56, vcc_lo
	v_add_co_u32 v59, vcc_lo, v123, v61
	ds_store_b128 v50, v[20:23] offset:352
	ds_store_b128 v50, v[24:27] offset:528
	;; [unrolled: 1-line block ×10, first 2 shown]
	ds_store_b128 v50, v[4:7]
	global_wb scope:SCOPE_SE
	s_wait_dscnt 0x0
	s_barrier_signal -1
	s_barrier_wait -1
	global_inv scope:SCOPE_SE
	ds_load_b128 v[1:4], v0
	ds_load_b128 v[5:8], v0 offset:176
	ds_load_b128 v[9:12], v0 offset:352
	;; [unrolled: 1-line block ×10, first 2 shown]
	s_wait_alu 0xfffd
	v_add_co_ci_u32_e32 v60, vcc_lo, v124, v62, vcc_lo
	v_add_co_u32 v61, vcc_lo, v123, v67
	s_wait_alu 0xfffd
	v_add_co_ci_u32_e32 v62, vcc_lo, v124, v68, vcc_lo
	v_add_co_u32 v63, vcc_lo, v123, v71
	;; [unrolled: 3-line block ×3, first 2 shown]
	s_wait_alu 0xfffd
	v_add_co_ci_u32_e32 v66, vcc_lo, v124, v76, vcc_lo
	v_lshlrev_b64_e32 v[48:49], 4, v[48:49]
	v_add_co_u32 v45, vcc_lo, v123, v81
	s_wait_alu 0xfffd
	v_add_co_ci_u32_e32 v46, vcc_lo, v124, v82, vcc_lo
	v_add_co_u32 v50, vcc_lo, v123, v85
	s_wait_alu 0xfffd
	v_add_co_ci_u32_e32 v51, vcc_lo, v124, v86, vcc_lo
	;; [unrolled: 3-line block ×3, first 2 shown]
	s_wait_dscnt 0xa
	global_store_b128 v[119:120], v[1:4], off
	s_wait_dscnt 0x9
	global_store_b128 v[121:122], v[5:8], off
	;; [unrolled: 2-line block ×11, first 2 shown]
	s_nop 0
	s_sendmsg sendmsg(MSG_DEALLOC_VGPRS)
	s_endpgm
	.section	.rodata,"a",@progbits
	.p2align	6, 0x0
	.amdhsa_kernel fft_rtc_fwd_len121_factors_11_11_wgs_121_tpt_11_dp_op_CI_CI_sbrc_z_xy_aligned
		.amdhsa_group_segment_fixed_size 0
		.amdhsa_private_segment_fixed_size 0
		.amdhsa_kernarg_size 104
		.amdhsa_user_sgpr_count 2
		.amdhsa_user_sgpr_dispatch_ptr 0
		.amdhsa_user_sgpr_queue_ptr 0
		.amdhsa_user_sgpr_kernarg_segment_ptr 1
		.amdhsa_user_sgpr_dispatch_id 0
		.amdhsa_user_sgpr_private_segment_size 0
		.amdhsa_wavefront_size32 1
		.amdhsa_uses_dynamic_stack 0
		.amdhsa_enable_private_segment 0
		.amdhsa_system_sgpr_workgroup_id_x 1
		.amdhsa_system_sgpr_workgroup_id_y 0
		.amdhsa_system_sgpr_workgroup_id_z 0
		.amdhsa_system_sgpr_workgroup_info 0
		.amdhsa_system_vgpr_workitem_id 0
		.amdhsa_next_free_vgpr 215
		.amdhsa_next_free_sgpr 46
		.amdhsa_reserve_vcc 1
		.amdhsa_float_round_mode_32 0
		.amdhsa_float_round_mode_16_64 0
		.amdhsa_float_denorm_mode_32 3
		.amdhsa_float_denorm_mode_16_64 3
		.amdhsa_fp16_overflow 0
		.amdhsa_workgroup_processor_mode 1
		.amdhsa_memory_ordered 1
		.amdhsa_forward_progress 0
		.amdhsa_round_robin_scheduling 0
		.amdhsa_exception_fp_ieee_invalid_op 0
		.amdhsa_exception_fp_denorm_src 0
		.amdhsa_exception_fp_ieee_div_zero 0
		.amdhsa_exception_fp_ieee_overflow 0
		.amdhsa_exception_fp_ieee_underflow 0
		.amdhsa_exception_fp_ieee_inexact 0
		.amdhsa_exception_int_div_zero 0
	.end_amdhsa_kernel
	.text
.Lfunc_end0:
	.size	fft_rtc_fwd_len121_factors_11_11_wgs_121_tpt_11_dp_op_CI_CI_sbrc_z_xy_aligned, .Lfunc_end0-fft_rtc_fwd_len121_factors_11_11_wgs_121_tpt_11_dp_op_CI_CI_sbrc_z_xy_aligned
                                        ; -- End function
	.section	.AMDGPU.csdata,"",@progbits
; Kernel info:
; codeLenInByte = 6312
; NumSgprs: 48
; NumVgprs: 215
; ScratchSize: 0
; MemoryBound: 0
; FloatMode: 240
; IeeeMode: 1
; LDSByteSize: 0 bytes/workgroup (compile time only)
; SGPRBlocks: 5
; VGPRBlocks: 26
; NumSGPRsForWavesPerEU: 48
; NumVGPRsForWavesPerEU: 215
; Occupancy: 7
; WaveLimiterHint : 1
; COMPUTE_PGM_RSRC2:SCRATCH_EN: 0
; COMPUTE_PGM_RSRC2:USER_SGPR: 2
; COMPUTE_PGM_RSRC2:TRAP_HANDLER: 0
; COMPUTE_PGM_RSRC2:TGID_X_EN: 1
; COMPUTE_PGM_RSRC2:TGID_Y_EN: 0
; COMPUTE_PGM_RSRC2:TGID_Z_EN: 0
; COMPUTE_PGM_RSRC2:TIDIG_COMP_CNT: 0
	.text
	.p2alignl 7, 3214868480
	.fill 96, 4, 3214868480
	.type	__hip_cuid_25259b1bf1d72bb5,@object ; @__hip_cuid_25259b1bf1d72bb5
	.section	.bss,"aw",@nobits
	.globl	__hip_cuid_25259b1bf1d72bb5
__hip_cuid_25259b1bf1d72bb5:
	.byte	0                               ; 0x0
	.size	__hip_cuid_25259b1bf1d72bb5, 1

	.ident	"AMD clang version 19.0.0git (https://github.com/RadeonOpenCompute/llvm-project roc-6.4.0 25133 c7fe45cf4b819c5991fe208aaa96edf142730f1d)"
	.section	".note.GNU-stack","",@progbits
	.addrsig
	.addrsig_sym __hip_cuid_25259b1bf1d72bb5
	.amdgpu_metadata
---
amdhsa.kernels:
  - .args:
      - .actual_access:  read_only
        .address_space:  global
        .offset:         0
        .size:           8
        .value_kind:     global_buffer
      - .offset:         8
        .size:           8
        .value_kind:     by_value
      - .actual_access:  read_only
        .address_space:  global
        .offset:         16
        .size:           8
        .value_kind:     global_buffer
      - .actual_access:  read_only
        .address_space:  global
        .offset:         24
        .size:           8
        .value_kind:     global_buffer
      - .actual_access:  read_only
        .address_space:  global
        .offset:         32
        .size:           8
        .value_kind:     global_buffer
      - .offset:         40
        .size:           8
        .value_kind:     by_value
      - .actual_access:  read_only
        .address_space:  global
        .offset:         48
        .size:           8
        .value_kind:     global_buffer
      - .actual_access:  read_only
        .address_space:  global
        .offset:         56
        .size:           8
        .value_kind:     global_buffer
      - .offset:         64
        .size:           4
        .value_kind:     by_value
      - .actual_access:  read_only
        .address_space:  global
        .offset:         72
        .size:           8
        .value_kind:     global_buffer
      - .actual_access:  read_only
        .address_space:  global
        .offset:         80
        .size:           8
        .value_kind:     global_buffer
      - .actual_access:  read_only
        .address_space:  global
        .offset:         88
        .size:           8
        .value_kind:     global_buffer
      - .actual_access:  write_only
        .address_space:  global
        .offset:         96
        .size:           8
        .value_kind:     global_buffer
    .group_segment_fixed_size: 0
    .kernarg_segment_align: 8
    .kernarg_segment_size: 104
    .language:       OpenCL C
    .language_version:
      - 2
      - 0
    .max_flat_workgroup_size: 121
    .name:           fft_rtc_fwd_len121_factors_11_11_wgs_121_tpt_11_dp_op_CI_CI_sbrc_z_xy_aligned
    .private_segment_fixed_size: 0
    .sgpr_count:     48
    .sgpr_spill_count: 0
    .symbol:         fft_rtc_fwd_len121_factors_11_11_wgs_121_tpt_11_dp_op_CI_CI_sbrc_z_xy_aligned.kd
    .uniform_work_group_size: 1
    .uses_dynamic_stack: false
    .vgpr_count:     215
    .vgpr_spill_count: 0
    .wavefront_size: 32
    .workgroup_processor_mode: 1
amdhsa.target:   amdgcn-amd-amdhsa--gfx1201
amdhsa.version:
  - 1
  - 2
...

	.end_amdgpu_metadata
